;; amdgpu-corpus repo=ROCm/rocFFT kind=compiled arch=gfx1030 opt=O3
	.text
	.amdgcn_target "amdgcn-amd-amdhsa--gfx1030"
	.amdhsa_code_object_version 6
	.protected	fft_rtc_fwd_len169_factors_13_13_wgs_156_tpt_13_sp_op_CI_CI_sbrc_erc_z_xy_aligned_dirReg ; -- Begin function fft_rtc_fwd_len169_factors_13_13_wgs_156_tpt_13_sp_op_CI_CI_sbrc_erc_z_xy_aligned_dirReg
	.globl	fft_rtc_fwd_len169_factors_13_13_wgs_156_tpt_13_sp_op_CI_CI_sbrc_erc_z_xy_aligned_dirReg
	.p2align	8
	.type	fft_rtc_fwd_len169_factors_13_13_wgs_156_tpt_13_sp_op_CI_CI_sbrc_erc_z_xy_aligned_dirReg,@function
fft_rtc_fwd_len169_factors_13_13_wgs_156_tpt_13_sp_op_CI_CI_sbrc_erc_z_xy_aligned_dirReg: ; @fft_rtc_fwd_len169_factors_13_13_wgs_156_tpt_13_sp_op_CI_CI_sbrc_erc_z_xy_aligned_dirReg
; %bb.0:
	s_load_dwordx8 s[8:15], s[4:5], 0x0
	v_mov_b32_e32 v1, 0x184
	v_mul_u32_u24_e32 v2, 0x184, v0
	v_add_nc_u16 v3, v0, 0x9c
	v_add_nc_u16 v4, v0, 0x138
	;; [unrolled: 1-line block ×4, first 2 shown]
	v_lshrrev_b32_e32 v34, 16, v2
	v_mul_u32_u24_sdwa v2, v3, v1 dst_sel:DWORD dst_unused:UNUSED_PAD src0_sel:WORD_0 src1_sel:DWORD
	v_mul_u32_u24_sdwa v8, v4, v1 dst_sel:DWORD dst_unused:UNUSED_PAD src0_sel:WORD_0 src1_sel:DWORD
	;; [unrolled: 1-line block ×4, first 2 shown]
	v_mov_b32_e32 v24, 0xc1f
	v_lshrrev_b32_e32 v35, 16, v2
	v_add_nc_u16 v14, v0, 0x30c
	v_lshrrev_b32_e32 v37, 16, v10
	v_lshrrev_b32_e32 v38, 16, v1
	v_lshrrev_b32_e32 v36, 16, v8
	v_mul_lo_u16 v12, 0xa9, v34
	v_mul_u32_u24_sdwa v11, v14, v24 dst_sel:DWORD dst_unused:UNUSED_PAD src0_sel:WORD_0 src1_sel:DWORD
	s_waitcnt lgkmcnt(0)
	s_load_dwordx4 s[16:19], s[12:13], 0x8
	v_mul_lo_u16 v8, 0xa9, v35
	v_mul_lo_u16 v10, 0xa9, v36
	v_mov_b32_e32 v9, 0
	v_lshrrev_b32_e32 v39, 19, v11
	v_mul_lo_u16 v11, 0xa9, v38
	s_mov_b32 s13, 0
	v_add_nc_u16 v23, v0, 0x3a8
	v_mul_lo_u16 v15, 0xa9, v39
	v_sub_nc_u16 v25, v14, v15
	v_and_b32_e32 v45, 0xffff, v25
	s_waitcnt lgkmcnt(0)
	s_add_i32 s0, s16, -1
	s_mul_hi_u32 s7, s0, 0xaaaaaaab
	s_clause 0x1
	s_load_dwordx4 s[0:3], s[4:5], 0x58
	s_load_dwordx2 s[24:25], s[4:5], 0x20
	s_lshr_b32 s4, s7, 3
	s_clause 0x1
	s_load_dwordx4 s[20:23], s[14:15], 0x0
	s_load_dword s26, s[14:15], 0x10
	s_add_i32 s5, s4, 1
	s_mul_i32 s7, s5, s18
	v_cvt_f32_u32_e32 v1, s5
	v_cvt_f32_u32_e32 v5, s7
	s_sub_i32 s16, 0, s7
	v_rcp_iflag_f32_e32 v1, v1
	v_rcp_iflag_f32_e32 v5, v5
	v_mul_f32_e32 v1, 0x4f7ffffe, v1
	v_mul_f32_e32 v2, 0x4f7ffffe, v5
	v_sub_nc_u16 v5, v0, v12
	v_cvt_u32_f32_e32 v1, v1
	v_cvt_u32_f32_e32 v2, v2
	v_and_b32_e32 v40, 0xffff, v5
	v_readfirstlane_b32 s29, v1
	v_readfirstlane_b32 s12, v2
	v_mul_lo_u16 v2, 0xa9, v37
	v_sub_nc_u16 v1, v3, v8
	v_sub_nc_u16 v3, v4, v10
	;; [unrolled: 1-line block ×3, first 2 shown]
	s_mul_i32 s16, s16, s12
	v_sub_nc_u16 v2, v6, v2
	s_mul_hi_u32 s16, s12, s16
	v_and_b32_e32 v41, 0xffff, v1
	s_add_i32 s12, s12, s16
	s_waitcnt lgkmcnt(0)
	s_load_dwordx4 s[16:19], s[24:25], 0x0
	s_mul_hi_u32 s12, s6, s12
	v_and_b32_e32 v43, 0xffff, v2
	s_mul_i32 s23, s12, s7
	s_add_i32 s27, s12, 1
	s_sub_i32 s23, s6, s23
	v_and_b32_e32 v42, 0xffff, v3
	s_sub_i32 s28, s23, s7
	s_cmp_ge_u32 s23, s7
	s_waitcnt lgkmcnt(0)
	s_load_dword s19, s[24:25], 0x10
	s_cselect_b32 s12, s27, s12
	s_cselect_b32 s23, s28, s23
	s_add_i32 s27, s12, 1
	s_cmp_ge_u32 s23, s7
	v_and_b32_e32 v44, 0xffff, v4
	s_cselect_b32 s23, s27, s12
	s_not_b32 s4, s4
	s_mul_i32 s7, s23, s7
	s_mul_i32 s4, s4, s29
	s_sub_i32 s7, s6, s7
	s_mul_hi_u32 s4, s29, s4
	v_mad_u64_u32 v[1:2], null, s20, v40, 0
	s_add_i32 s29, s29, s4
	v_mad_u64_u32 v[3:4], null, s20, v41, 0
	s_mul_hi_u32 s4, s7, s29
	s_mul_hi_u32 s28, s6, s29
	s_mul_i32 s12, s4, s5
	s_mul_i32 s28, s28, s5
	s_sub_i32 s7, s7, s12
	s_add_i32 s12, s4, 1
	s_sub_i32 s27, s7, s5
	s_cmp_ge_u32 s7, s5
	v_mul_lo_u32 v8, s22, v34
	s_cselect_b32 s4, s12, s4
	s_cselect_b32 s7, s27, s7
	s_add_i32 s12, s4, 1
	s_cmp_ge_u32 s7, s5
	v_mad_u64_u32 v[10:11], null, s20, v43, 0
	s_cselect_b32 s4, s12, s4
	s_sub_i32 s6, s6, s28
	s_mul_i32 s12, s4, s26
	s_sub_i32 s7, s6, s5
	s_cmp_ge_u32 s6, s5
	v_mad_u64_u32 v[5:6], null, s20, v42, 0
	s_cselect_b32 s6, s7, s6
	v_mad_u64_u32 v[16:17], null, s21, v40, v[2:3]
	s_sub_i32 s7, s6, s5
	s_cmp_ge_u32 s6, s5
	v_lshlrev_b64 v[14:15], 3, v[8:9]
	s_cselect_b32 s5, s7, s6
	s_lshl_b64 s[6:7], s[10:11], 3
	s_mul_i32 s26, s5, 12
	v_mul_lo_u32 v8, s22, v35
	s_mul_i32 s5, s26, s22
	s_mul_i32 s10, s17, s26
	s_mul_hi_u32 s11, s16, s26
	s_add_i32 s12, s5, s12
	s_add_i32 s5, s11, s10
	s_add_u32 s10, s14, s6
	s_addc_u32 s11, s15, s7
	v_mov_b32_e32 v7, v11
	s_load_dwordx2 s[10:11], s[10:11], 0x0
	v_mad_u64_u32 v[17:18], null, s21, v41, v[4:5]
	v_mad_u64_u32 v[12:13], null, s20, v44, 0
	;; [unrolled: 1-line block ×3, first 2 shown]
	v_mov_b32_e32 v2, v16
	v_mad_u64_u32 v[19:20], null, s21, v43, v[7:8]
	v_mov_b32_e32 v4, v17
	v_mov_b32_e32 v11, v13
	v_lshlrev_b64 v[1:2], 3, v[1:2]
	v_mov_b32_e32 v6, v18
	v_mul_u32_u24_sdwa v7, v23, v24 dst_sel:DWORD dst_unused:UNUSED_PAD src0_sel:WORD_0 src1_sel:DWORD
	v_lshlrev_b64 v[3:4], 3, v[3:4]
	v_mad_u64_u32 v[20:21], null, s21, v44, v[11:12]
	v_mov_b32_e32 v11, v19
	v_lshlrev_b64 v[21:22], 3, v[8:9]
	s_waitcnt lgkmcnt(0)
	s_mul_i32 s11, s11, s23
	s_mul_hi_u32 s14, s10, s23
	s_mul_i32 s10, s10, s23
	s_add_i32 s11, s14, s11
	s_add_u32 s6, s24, s6
	s_addc_u32 s7, s25, s7
	s_lshl_b64 s[10:11], s[10:11], 3
	s_load_dwordx2 s[6:7], s[6:7], 0x0
	v_mul_lo_u32 v8, s22, v36
	v_lshlrev_b64 v[5:6], 3, v[5:6]
	v_lshlrev_b64 v[10:11], 3, v[10:11]
	v_mov_b32_e32 v13, v20
	v_lshrrev_b32_e32 v46, 19, v7
	v_lshlrev_b32_e32 v40, 3, v40
	v_lshlrev_b64 v[16:17], 3, v[8:9]
	v_mul_lo_u32 v8, s22, v37
	v_mul_lo_u16 v7, 0xa9, v46
	v_lshlrev_b64 v[18:19], 3, v[8:9]
	v_mul_lo_u32 v8, s22, v38
	s_waitcnt lgkmcnt(0)
	s_mul_i32 s7, s7, s23
	s_mul_hi_u32 s14, s6, s23
	s_mul_i32 s6, s6, s23
	s_add_i32 s7, s14, s7
	s_add_u32 s10, s0, s10
	s_addc_u32 s11, s1, s11
	s_lshl_b64 s[0:1], s[12:13], 3
	s_mul_i32 s12, s4, s18
	s_add_u32 s0, s10, s0
	s_addc_u32 s1, s11, s1
	v_add_co_u32 v1, vcc_lo, s0, v1
	v_add_co_ci_u32_e32 v2, vcc_lo, s1, v2, vcc_lo
	v_add_co_u32 v3, vcc_lo, s0, v3
	v_add_co_ci_u32_e32 v4, vcc_lo, s1, v4, vcc_lo
	v_add_co_u32 v5, vcc_lo, s0, v5
	v_add_co_ci_u32_e32 v6, vcc_lo, s1, v6, vcc_lo
	v_add_co_u32 v20, vcc_lo, s0, v10
	v_add_co_ci_u32_e32 v25, vcc_lo, s1, v11, vcc_lo
	v_add_co_u32 v1, vcc_lo, v1, v14
	v_add_co_ci_u32_e32 v2, vcc_lo, v2, v15, vcc_lo
	v_add_co_u32 v3, vcc_lo, v3, v21
	v_lshlrev_b64 v[10:11], 3, v[12:13]
	v_mad_u64_u32 v[12:13], null, s20, v45, 0
	v_add_co_ci_u32_e32 v4, vcc_lo, v4, v22, vcc_lo
	v_add_co_u32 v5, vcc_lo, v5, v16
	v_add_co_ci_u32_e32 v6, vcc_lo, v6, v17, vcc_lo
	v_add_co_u32 v14, vcc_lo, v20, v18
	v_sub_nc_u16 v16, v23, v7
	v_add_co_ci_u32_e32 v15, vcc_lo, v25, v19, vcc_lo
	v_add_co_u32 v18, vcc_lo, s0, v10
	v_mov_b32_e32 v7, v13
	v_add_nc_u16 v20, v0, 0x444
	v_add_co_ci_u32_e32 v19, vcc_lo, s1, v11, vcc_lo
	v_lshlrev_b64 v[10:11], 3, v[8:9]
	v_and_b32_e32 v47, 0xffff, v16
	v_mad_u64_u32 v[7:8], null, s21, v45, v[7:8]
	v_mul_u32_u24_sdwa v8, v20, v24 dst_sel:DWORD dst_unused:UNUSED_PAD src0_sel:WORD_0 src1_sel:DWORD
	v_add_nc_u16 v25, v0, 0x57c
	v_mad_u64_u32 v[16:17], null, s20, v47, 0
	v_add_co_u32 v10, vcc_lo, v18, v10
	v_add_co_ci_u32_e32 v11, vcc_lo, v19, v11, vcc_lo
	v_add_nc_u16 v19, v0, 0x4e0
	v_lshrrev_b32_e32 v48, 19, v8
	v_mul_lo_u32 v8, s22, v39
	v_mov_b32_e32 v13, v7
	v_mov_b32_e32 v7, v17
	v_mul_u32_u24_sdwa v22, v19, v24 dst_sel:DWORD dst_unused:UNUSED_PAD src0_sel:WORD_0 src1_sel:DWORD
	v_mul_lo_u16 v21, 0xa9, v48
	s_mul_i32 s4, s16, s26
	v_lshlrev_b64 v[12:13], 3, v[12:13]
	v_lshrrev_b32_e32 v49, 19, v22
	v_mad_u64_u32 v[17:18], null, s21, v47, v[7:8]
	v_sub_nc_u16 v7, v20, v21
	v_add_co_u32 v18, vcc_lo, s0, v12
	v_mul_lo_u16 v21, 0xa9, v49
	v_add_co_ci_u32_e32 v20, vcc_lo, s1, v13, vcc_lo
	v_and_b32_e32 v50, 0xffff, v7
	v_lshlrev_b64 v[7:8], 3, v[8:9]
	v_sub_nc_u16 v21, v19, v21
	v_lshlrev_b64 v[16:17], 3, v[16:17]
	v_mad_u64_u32 v[12:13], null, s20, v50, 0
	v_add_co_u32 v18, vcc_lo, v18, v7
	v_and_b32_e32 v51, 0xffff, v21
	v_add_co_ci_u32_e32 v19, vcc_lo, v20, v8, vcc_lo
	v_mul_lo_u32 v8, s22, v46
	v_mov_b32_e32 v7, v13
	v_mad_u64_u32 v[20:21], null, s20, v51, 0
	v_mul_u32_u24_sdwa v13, v25, v24 dst_sel:DWORD dst_unused:UNUSED_PAD src0_sel:WORD_0 src1_sel:DWORD
	v_mad_u64_u32 v[22:23], null, s21, v50, v[7:8]
	v_lshrrev_b32_e32 v52, 19, v13
	v_mov_b32_e32 v7, v21
	v_add_co_u32 v23, vcc_lo, s0, v16
	v_add_co_ci_u32_e32 v26, vcc_lo, s1, v17, vcc_lo
	v_mov_b32_e32 v13, v22
	v_lshlrev_b64 v[16:17], 3, v[8:9]
	v_mul_lo_u16 v21, 0xa9, v52
	v_mad_u64_u32 v[7:8], null, s21, v51, v[7:8]
	v_mul_lo_u32 v8, s22, v48
	v_lshlrev_b64 v[12:13], 3, v[12:13]
	v_sub_nc_u16 v22, v25, v21
	v_add_co_u32 v16, vcc_lo, v23, v16
	v_add_co_ci_u32_e32 v17, vcc_lo, v26, v17, vcc_lo
	v_mov_b32_e32 v21, v7
	v_lshlrev_b64 v[7:8], 3, v[8:9]
	v_and_b32_e32 v53, 0xffff, v22
	v_add_co_u32 v22, vcc_lo, s0, v12
	v_add_co_ci_u32_e32 v23, vcc_lo, s1, v13, vcc_lo
	v_add_nc_u16 v25, v0, 0x618
	v_add_co_u32 v22, vcc_lo, v22, v7
	v_lshlrev_b64 v[12:13], 3, v[20:21]
	v_mad_u64_u32 v[20:21], null, s20, v53, 0
	v_add_co_ci_u32_e32 v23, vcc_lo, v23, v8, vcc_lo
	v_mul_lo_u32 v8, s22, v49
	v_mul_u32_u24_sdwa v26, v25, v24 dst_sel:DWORD dst_unused:UNUSED_PAD src0_sel:WORD_0 src1_sel:DWORD
	v_add_co_u32 v27, vcc_lo, s0, v12
	v_mov_b32_e32 v7, v21
	v_add_co_ci_u32_e32 v28, vcc_lo, s1, v13, vcc_lo
	v_lshrrev_b32_e32 v54, 19, v26
	v_lshlrev_b64 v[12:13], 3, v[8:9]
	v_add_nc_u16 v26, v0, 0x6b4
	v_mad_u64_u32 v[7:8], null, s21, v53, v[7:8]
	v_mul_lo_u16 v8, 0xa9, v54
	v_add_co_u32 v12, vcc_lo, v27, v12
	v_mul_u32_u24_sdwa v21, v26, v24 dst_sel:DWORD dst_unused:UNUSED_PAD src0_sel:WORD_0 src1_sel:DWORD
	v_add_co_ci_u32_e32 v13, vcc_lo, v28, v13, vcc_lo
	v_add_nc_u16 v28, v0, 0x750
	v_sub_nc_u16 v25, v25, v8
	v_lshrrev_b32_e32 v55, 19, v21
	v_mov_b32_e32 v21, v7
	v_mul_lo_u32 v8, s22, v52
	v_mul_u32_u24_sdwa v27, v28, v24 dst_sel:DWORD dst_unused:UNUSED_PAD src0_sel:WORD_0 src1_sel:DWORD
	v_and_b32_e32 v56, 0xffff, v25
	v_mul_lo_u16 v7, 0xa9, v55
	v_lshlrev_b64 v[20:21], 3, v[20:21]
	v_lshrrev_b32_e32 v57, 19, v27
	v_mad_u64_u32 v[24:25], null, s20, v56, 0
	v_sub_nc_u16 v7, v26, v7
	v_add_co_u32 v29, vcc_lo, s0, v20
	v_mul_lo_u16 v30, 0xa9, v57
	v_add_co_ci_u32_e32 v21, vcc_lo, s1, v21, vcc_lo
	v_and_b32_e32 v58, 0xffff, v7
	v_mov_b32_e32 v20, v25
	v_sub_nc_u16 v25, v28, v30
	v_lshlrev_b64 v[7:8], 3, v[8:9]
	s_clause 0x3
	global_load_dwordx2 v[1:2], v[1:2], off
	global_load_dwordx2 v[3:4], v[3:4], off
	global_load_dwordx2 v[5:6], v[5:6], off
	global_load_dwordx2 v[30:31], v[14:15], off
	v_mad_u64_u32 v[26:27], null, s20, v58, 0
	v_and_b32_e32 v59, 0xffff, v25
	s_clause 0x3
	global_load_dwordx2 v[10:11], v[10:11], off
	global_load_dwordx2 v[18:19], v[18:19], off
	;; [unrolled: 1-line block ×4, first 2 shown]
	v_add_co_u32 v28, vcc_lo, v29, v7
	v_add_co_ci_u32_e32 v29, vcc_lo, v21, v8, vcc_lo
	v_mad_u64_u32 v[7:8], null, s21, v56, v[20:21]
	v_mad_u64_u32 v[20:21], null, s20, v59, 0
	v_mov_b32_e32 v8, v27
	v_mov_b32_e32 v25, v7
	v_mad_u64_u32 v[7:8], null, s21, v58, v[8:9]
	v_mul_lo_u32 v8, s22, v54
	v_mov_b32_e32 v14, v21
	v_lshlrev_b64 v[24:25], 3, v[24:25]
	v_mad_u64_u32 v[14:15], null, s21, v59, v[14:15]
	v_lshlrev_b64 v[32:33], 3, v[8:9]
	v_mul_lo_u32 v8, s22, v55
	v_mov_b32_e32 v27, v7
	v_add_co_u32 v7, vcc_lo, s0, v24
	v_add_co_ci_u32_e32 v15, vcc_lo, s1, v25, vcc_lo
	v_mov_b32_e32 v21, v14
	v_lshlrev_b64 v[24:25], 3, v[26:27]
	v_lshlrev_b64 v[26:27], 3, v[8:9]
	v_mul_lo_u32 v8, s22, v57
	v_add_co_u32 v14, vcc_lo, v7, v32
	v_lshlrev_b64 v[20:21], 3, v[20:21]
	v_add_co_ci_u32_e32 v15, vcc_lo, v15, v33, vcc_lo
	v_add_co_u32 v24, vcc_lo, s0, v24
	v_add_co_ci_u32_e32 v25, vcc_lo, s1, v25, vcc_lo
	v_add_co_u32 v32, vcc_lo, s0, v20
	v_lshlrev_b64 v[7:8], 3, v[8:9]
	v_add_co_ci_u32_e32 v33, vcc_lo, s1, v21, vcc_lo
	v_add_co_u32 v20, vcc_lo, v24, v26
	v_add_co_ci_u32_e32 v21, vcc_lo, v25, v27, vcc_lo
	v_add_co_u32 v7, vcc_lo, v32, v7
	v_add_co_ci_u32_e32 v8, vcc_lo, v33, v8, vcc_lo
	s_clause 0x4
	global_load_dwordx2 v[24:25], v[12:13], off
	global_load_dwordx2 v[26:27], v[28:29], off
	;; [unrolled: 1-line block ×5, first 2 shown]
	v_mul_u32_u24_e32 v12, 0x13b2, v0
	v_mul_u32_u24_e32 v13, 0x550, v34
	;; [unrolled: 1-line block ×5, first 2 shown]
	v_lshrrev_b32_e32 v12, 16, v12
	v_add3_u32 v40, 0, v13, v40
	v_lshlrev_b32_e32 v13, 3, v41
	v_mul_u32_u24_e32 v37, 0x550, v48
	v_mul_u32_u24_e32 v48, 0x550, v54
	v_mul_lo_u16 v14, v12, 13
	v_add_nc_u32_e32 v12, s26, v12
	v_mul_u32_u24_e32 v32, 0x550, v36
	v_lshlrev_b32_e32 v41, 3, v42
	v_lshlrev_b32_e32 v42, 3, v43
	v_sub_nc_u16 v14, v0, v14
	v_mul_hi_u32 v38, 0xaaaaaaab, v12
	v_lshlrev_b32_e32 v43, 3, v44
	v_mul_u32_u24_e32 v35, 0x550, v39
	v_mul_u32_u24_e32 v36, 0x550, v46
	v_and_b32_e32 v14, 0xffff, v14
	v_mul_u32_u24_e32 v39, 0x550, v49
	v_mul_u32_u24_e32 v46, 0x550, v52
	;; [unrolled: 1-line block ×3, first 2 shown]
	v_lshrrev_b32_e32 v38, 3, v38
	v_lshlrev_b32_e32 v54, 3, v14
	v_mul_u32_u24_e32 v52, 0x550, v57
	v_lshlrev_b32_e32 v44, 3, v45
	v_lshlrev_b32_e32 v45, 3, v47
	v_mul_lo_u32 v38, v38, 12
	v_lshlrev_b32_e32 v47, 3, v50
	v_lshlrev_b32_e32 v50, 3, v51
	;; [unrolled: 1-line block ×5, first 2 shown]
	v_add3_u32 v32, 0, v32, v41
	v_add3_u32 v33, 0, v33, v42
	v_sub_nc_u32_e32 v12, v12, v38
	v_lshlrev_b32_e32 v38, 3, v56
	v_add3_u32 v56, 0, v15, v13
	v_add3_u32 v34, 0, v34, v43
	;; [unrolled: 1-line block ×3, first 2 shown]
	v_mul_u32_u24_e32 v12, 0xaa, v12
	v_add3_u32 v36, 0, v36, v45
	v_add3_u32 v37, 0, v37, v47
	;; [unrolled: 1-line block ×4, first 2 shown]
	v_lshlrev_b32_e32 v12, 3, v12
	v_add3_u32 v38, 0, v48, v38
	v_add3_u32 v42, 0, v49, v53
	;; [unrolled: 1-line block ×3, first 2 shown]
	s_lshl_b64 s[0:1], s[4:5], 3
	v_add_nc_u32_e32 v15, 0, v12
	v_add3_u32 v12, 0, v54, v12
	s_add_u32 s2, s2, s0
	s_addc_u32 s3, s3, s1
	s_lshl_b64 s[0:1], s[12:13], 3
	v_add_nc_u32_e32 v13, v15, v54
	v_mad_u32_u24 v15, 0x68, v14, v15
	s_add_u32 s2, s2, s0
	s_addc_u32 s3, s3, s1
	s_lshl_b64 s[0:1], s[6:7], 3
	s_waitcnt vmcnt(12)
	ds_write_b64 v40, v[1:2]
	s_waitcnt vmcnt(11)
	ds_write_b64 v56, v[3:4]
	;; [unrolled: 2-line block ×13, first 2 shown]
	s_waitcnt lgkmcnt(0)
	s_barrier
	buffer_gl0_inv
	ds_read_b64 v[32:33], v13
	ds_read2_b64 v[16:19], v12 offset0:13 offset1:26
	ds_read2_b64 v[20:23], v12 offset0:143 offset1:156
	;; [unrolled: 1-line block ×6, first 2 shown]
	s_waitcnt lgkmcnt(0)
	s_barrier
	buffer_gl0_inv
	s_add_u32 s0, s2, s0
	s_addc_u32 s1, s3, s1
	v_add_f32_e32 v10, v32, v16
	v_add_f32_e32 v11, v33, v17
	;; [unrolled: 1-line block ×3, first 2 shown]
	v_sub_f32_e32 v17, v17, v23
	v_add_f32_e32 v34, v22, v16
	v_add_f32_e32 v10, v10, v18
	v_add_f32_e32 v11, v11, v19
	v_sub_f32_e32 v16, v16, v22
	v_add_f32_e32 v37, v21, v19
	v_sub_f32_e32 v19, v19, v21
	v_add_f32_e32 v10, v10, v24
	v_add_f32_e32 v11, v11, v25
	v_mul_f32_e32 v38, 0xbeedf032, v17
	v_add_f32_e32 v36, v20, v18
	v_sub_f32_e32 v18, v18, v20
	v_add_f32_e32 v10, v10, v26
	v_add_f32_e32 v11, v11, v27
	v_mul_f32_e32 v39, 0xbeedf032, v16
	v_mul_f32_e32 v40, 0xbf52af12, v17
	v_mul_f32_e32 v41, 0xbf52af12, v16
	v_add_f32_e32 v10, v10, v1
	v_add_f32_e32 v11, v11, v2
	v_mul_f32_e32 v42, 0xbf7e222b, v17
	v_mul_f32_e32 v43, 0xbf7e222b, v16
	v_mul_f32_e32 v44, 0xbf6f5d39, v17
	;; [unrolled: 5-line block ×4, first 2 shown]
	v_add_f32_e32 v10, v10, v7
	v_add_f32_e32 v11, v11, v8
	v_fma_f32 v52, 0x3f62ad3f, v34, -v38
	v_fmac_f32_e32 v38, 0x3f62ad3f, v34
	v_mul_f32_e32 v49, 0xbf52af12, v18
	v_add_f32_e32 v10, v10, v28
	v_add_f32_e32 v11, v11, v29
	v_mul_f32_e32 v50, 0xbf6f5d39, v19
	v_fmamk_f32 v53, v35, 0x3f62ad3f, v39
	v_fma_f32 v39, 0x3f62ad3f, v35, -v39
	v_add_f32_e32 v10, v10, v30
	v_add_f32_e32 v11, v11, v31
	v_fma_f32 v54, 0x3f116cb1, v34, -v40
	v_fmamk_f32 v55, v35, 0x3f116cb1, v41
	v_fmac_f32_e32 v40, 0x3f116cb1, v34
	v_add_f32_e32 v10, v10, v20
	v_add_f32_e32 v11, v11, v21
	v_fma_f32 v41, 0x3f116cb1, v35, -v41
	v_fma_f32 v56, 0x3df6dbef, v34, -v42
	v_fmamk_f32 v20, v35, 0x3df6dbef, v43
	v_fmac_f32_e32 v42, 0x3df6dbef, v34
	v_fma_f32 v21, 0x3df6dbef, v35, -v43
	v_add_f32_e32 v10, v10, v22
	v_add_f32_e32 v11, v11, v23
	v_fma_f32 v22, 0xbeb58ec6, v34, -v44
	v_fmamk_f32 v23, v35, 0xbeb58ec6, v45
	v_fmac_f32_e32 v44, 0xbeb58ec6, v34
	v_fma_f32 v43, 0xbeb58ec6, v35, -v45
	v_fma_f32 v45, 0xbf3f9e67, v34, -v46
	v_fmamk_f32 v57, v35, 0xbf3f9e67, v47
	v_fmac_f32_e32 v46, 0xbf3f9e67, v34
	v_fma_f32 v47, 0xbf3f9e67, v35, -v47
	v_fma_f32 v58, 0xbf788fa5, v34, -v17
	v_fmac_f32_e32 v17, 0xbf788fa5, v34
	v_fmamk_f32 v34, v35, 0xbf788fa5, v16
	v_fma_f32 v16, 0xbf788fa5, v35, -v16
	v_fma_f32 v35, 0x3f116cb1, v36, -v48
	v_add_f32_e32 v38, v32, v38
	v_fmac_f32_e32 v48, 0x3f116cb1, v36
	v_mul_f32_e32 v51, 0xbf6f5d39, v18
	v_add_f32_e32 v52, v32, v52
	v_add_f32_e32 v53, v33, v53
	;; [unrolled: 1-line block ×23, first 2 shown]
	v_mul_f32_e32 v32, 0xbe750f2a, v19
	v_fmamk_f32 v33, v37, 0x3f116cb1, v49
	v_fma_f32 v49, 0x3f116cb1, v37, -v49
	v_add_f32_e32 v38, v48, v38
	v_fma_f32 v48, 0xbeb58ec6, v36, -v50
	v_add_f32_e32 v35, v35, v52
	v_mul_f32_e32 v52, 0xbe750f2a, v18
	v_add_f32_e32 v33, v33, v53
	v_mul_f32_e32 v53, 0x3f29c268, v19
	v_add_f32_e32 v39, v49, v39
	v_fmamk_f32 v49, v37, 0xbeb58ec6, v51
	v_fmac_f32_e32 v50, 0xbeb58ec6, v36
	v_fma_f32 v51, 0xbeb58ec6, v37, -v51
	v_add_f32_e32 v48, v48, v54
	v_fma_f32 v54, 0xbf788fa5, v36, -v32
	v_fmac_f32_e32 v32, 0xbf788fa5, v36
	v_add_f32_e32 v49, v49, v55
	v_fmamk_f32 v55, v37, 0xbf788fa5, v52
	v_add_f32_e32 v40, v50, v40
	v_add_f32_e32 v41, v51, v41
	v_add_f32_e32 v50, v54, v56
	v_fma_f32 v51, 0xbf788fa5, v37, -v52
	v_fma_f32 v52, 0xbf3f9e67, v36, -v53
	v_mul_f32_e32 v54, 0x3f29c268, v18
	v_add_f32_e32 v32, v32, v42
	v_mul_f32_e32 v42, 0x3f7e222b, v19
	v_add_f32_e32 v20, v55, v20
	v_add_f32_e32 v21, v51, v21
	;; [unrolled: 1-line block ×3, first 2 shown]
	v_fmamk_f32 v51, v37, 0xbf3f9e67, v54
	v_fmac_f32_e32 v53, 0xbf3f9e67, v36
	v_mul_f32_e32 v52, 0x3f7e222b, v18
	v_fma_f32 v55, 0x3df6dbef, v36, -v42
	v_mul_f32_e32 v19, 0x3eedf032, v19
	v_fmac_f32_e32 v42, 0x3df6dbef, v36
	v_add_f32_e32 v23, v51, v23
	v_add_f32_e32 v44, v53, v44
	v_fmamk_f32 v51, v37, 0x3df6dbef, v52
	v_fma_f32 v52, 0x3df6dbef, v37, -v52
	v_fma_f32 v53, 0x3f62ad3f, v36, -v19
	v_add_f32_e32 v42, v42, v46
	v_sub_f32_e32 v46, v25, v31
	v_fma_f32 v54, 0xbf3f9e67, v37, -v54
	v_add_f32_e32 v45, v55, v45
	v_mul_f32_e32 v18, 0x3eedf032, v18
	v_add_f32_e32 v47, v52, v47
	v_add_f32_e32 v52, v53, v58
	;; [unrolled: 1-line block ×3, first 2 shown]
	v_mul_f32_e32 v55, 0xbf7e222b, v46
	v_sub_f32_e32 v24, v24, v30
	v_add_f32_e32 v43, v54, v43
	v_fmamk_f32 v54, v37, 0x3f62ad3f, v18
	v_fmac_f32_e32 v19, 0x3f62ad3f, v36
	v_fma_f32 v18, 0x3f62ad3f, v37, -v18
	v_fma_f32 v30, 0x3df6dbef, v53, -v55
	v_add_f32_e32 v25, v31, v25
	v_mul_f32_e32 v31, 0xbf7e222b, v24
	v_add_f32_e32 v17, v19, v17
	v_add_f32_e32 v16, v18, v16
	;; [unrolled: 1-line block ×3, first 2 shown]
	v_mul_f32_e32 v19, 0xbe750f2a, v46
	v_fmamk_f32 v30, v25, 0x3df6dbef, v31
	v_fmac_f32_e32 v55, 0x3df6dbef, v53
	v_fma_f32 v31, 0x3df6dbef, v25, -v31
	v_mul_f32_e32 v35, 0xbe750f2a, v24
	v_fma_f32 v36, 0xbf788fa5, v53, -v19
	v_add_f32_e32 v30, v30, v33
	v_add_f32_e32 v33, v55, v38
	;; [unrolled: 1-line block ×3, first 2 shown]
	v_fmamk_f32 v37, v25, 0xbf788fa5, v35
	v_mul_f32_e32 v38, 0x3f6f5d39, v46
	v_fmac_f32_e32 v19, 0xbf788fa5, v53
	v_fma_f32 v35, 0xbf788fa5, v25, -v35
	v_mul_f32_e32 v39, 0x3f6f5d39, v24
	v_add_f32_e32 v36, v36, v48
	v_fma_f32 v48, 0xbeb58ec6, v53, -v38
	v_add_f32_e32 v19, v19, v40
	v_add_f32_e32 v35, v35, v41
	v_mul_f32_e32 v40, 0x3eedf032, v46
	v_fmamk_f32 v41, v25, 0xbeb58ec6, v39
	v_fmac_f32_e32 v38, 0xbeb58ec6, v53
	v_add_f32_e32 v37, v37, v49
	v_fma_f32 v39, 0xbeb58ec6, v25, -v39
	v_fma_f32 v49, 0x3f62ad3f, v53, -v40
	v_add_f32_e32 v20, v41, v20
	v_mul_f32_e32 v41, 0x3eedf032, v24
	v_add_f32_e32 v32, v38, v32
	v_mul_f32_e32 v38, 0xbf52af12, v46
	v_add_f32_e32 v48, v48, v50
	v_add_f32_e32 v21, v39, v21
	;; [unrolled: 1-line block ×3, first 2 shown]
	v_fmamk_f32 v39, v25, 0x3f62ad3f, v41
	v_mul_f32_e32 v49, 0xbf52af12, v24
	v_fma_f32 v41, 0x3f62ad3f, v25, -v41
	v_fma_f32 v50, 0x3f116cb1, v53, -v38
	v_fmac_f32_e32 v38, 0x3f116cb1, v53
	v_fmac_f32_e32 v40, 0x3f62ad3f, v53
	v_mul_f32_e32 v24, 0xbf29c268, v24
	v_add_f32_e32 v41, v41, v43
	v_add_f32_e32 v43, v50, v45
	v_fma_f32 v45, 0x3f116cb1, v25, -v49
	v_add_f32_e32 v38, v38, v42
	v_sub_f32_e32 v42, v27, v29
	v_add_f32_e32 v23, v39, v23
	v_add_f32_e32 v39, v40, v44
	;; [unrolled: 1-line block ×4, first 2 shown]
	v_mul_f32_e32 v50, 0xbf6f5d39, v42
	v_sub_f32_e32 v26, v26, v28
	v_fmamk_f32 v40, v25, 0x3f116cb1, v49
	v_mul_f32_e32 v44, 0xbf29c268, v46
	v_fmamk_f32 v49, v25, 0xbf3f9e67, v24
	v_fma_f32 v24, 0xbf3f9e67, v25, -v24
	v_fma_f32 v25, 0xbeb58ec6, v47, -v50
	v_add_f32_e32 v27, v29, v27
	v_mul_f32_e32 v28, 0xbf6f5d39, v26
	v_fma_f32 v46, 0xbf3f9e67, v53, -v44
	v_fmac_f32_e32 v44, 0xbf3f9e67, v53
	v_add_f32_e32 v16, v24, v16
	v_add_f32_e32 v18, v25, v18
	v_mul_f32_e32 v24, 0x3f29c268, v42
	v_fmamk_f32 v25, v27, 0xbeb58ec6, v28
	v_fma_f32 v28, 0xbeb58ec6, v27, -v28
	v_mul_f32_e32 v29, 0x3f29c268, v26
	v_add_f32_e32 v17, v44, v17
	v_fmac_f32_e32 v50, 0xbeb58ec6, v47
	v_fma_f32 v44, 0xbf3f9e67, v47, -v24
	v_add_f32_e32 v28, v28, v31
	v_fmamk_f32 v31, v27, 0xbf3f9e67, v29
	v_add_f32_e32 v25, v25, v30
	v_add_f32_e32 v30, v50, v33
	;; [unrolled: 1-line block ×3, first 2 shown]
	v_mul_f32_e32 v36, 0x3eedf032, v42
	v_fmac_f32_e32 v24, 0xbf3f9e67, v47
	v_fma_f32 v29, 0xbf3f9e67, v27, -v29
	v_add_f32_e32 v31, v31, v37
	v_mul_f32_e32 v37, 0x3eedf032, v26
	v_fma_f32 v44, 0x3f62ad3f, v47, -v36
	v_add_f32_e32 v19, v24, v19
	v_add_f32_e32 v24, v29, v35
	v_mul_f32_e32 v29, 0xbf7e222b, v42
	v_fmamk_f32 v35, v27, 0x3f62ad3f, v37
	v_add_f32_e32 v44, v44, v48
	v_fmac_f32_e32 v36, 0x3f62ad3f, v47
	v_fma_f32 v37, 0x3f62ad3f, v27, -v37
	v_fma_f32 v48, 0x3df6dbef, v47, -v29
	v_add_f32_e32 v20, v35, v20
	v_mul_f32_e32 v35, 0xbf7e222b, v26
	v_add_f32_e32 v51, v51, v57
	v_add_f32_e32 v34, v54, v34
	;; [unrolled: 1-line block ×5, first 2 shown]
	v_mul_f32_e32 v36, 0x3e750f2a, v42
	v_fmamk_f32 v37, v27, 0x3df6dbef, v35
	v_mul_f32_e32 v48, 0x3e750f2a, v26
	v_fma_f32 v35, 0x3df6dbef, v27, -v35
	v_add_f32_e32 v40, v40, v51
	v_add_f32_e32 v34, v49, v34
	v_fma_f32 v49, 0xbf788fa5, v47, -v36
	v_add_f32_e32 v23, v37, v23
	v_fmamk_f32 v37, v27, 0xbf788fa5, v48
	v_add_f32_e32 v35, v35, v41
	v_mul_f32_e32 v41, 0x3f52af12, v42
	v_fmac_f32_e32 v36, 0xbf788fa5, v47
	v_add_f32_e32 v46, v46, v52
	v_add_f32_e32 v37, v37, v40
	v_fma_f32 v40, 0xbf788fa5, v27, -v48
	v_fma_f32 v42, 0x3f116cb1, v47, -v41
	v_add_f32_e32 v36, v36, v38
	v_sub_f32_e32 v38, v2, v8
	v_fmac_f32_e32 v29, 0x3df6dbef, v47
	v_mul_f32_e32 v26, 0x3f52af12, v26
	v_add_f32_e32 v40, v40, v45
	v_add_f32_e32 v42, v42, v46
	;; [unrolled: 1-line block ×3, first 2 shown]
	v_mul_f32_e32 v46, 0xbf29c268, v38
	v_sub_f32_e32 v1, v1, v7
	v_add_f32_e32 v29, v29, v39
	v_add_f32_e32 v39, v49, v43
	v_fmamk_f32 v43, v27, 0x3f116cb1, v26
	v_fma_f32 v7, 0x3f116cb1, v27, -v26
	v_fma_f32 v26, 0xbf3f9e67, v45, -v46
	v_add_f32_e32 v2, v8, v2
	v_mul_f32_e32 v8, 0xbf29c268, v1
	v_mul_f32_e32 v27, 0x3f7e222b, v1
	v_add_f32_e32 v7, v7, v16
	v_add_f32_e32 v16, v26, v18
	v_fmac_f32_e32 v41, 0x3f116cb1, v47
	v_fmamk_f32 v26, v2, 0xbf3f9e67, v8
	v_fma_f32 v8, 0xbf3f9e67, v2, -v8
	v_mul_f32_e32 v18, 0x3f7e222b, v38
	v_fmac_f32_e32 v46, 0xbf3f9e67, v45
	v_add_f32_e32 v17, v41, v17
	v_add_f32_e32 v25, v26, v25
	v_add_f32_e32 v8, v8, v28
	v_fmamk_f32 v28, v2, 0x3df6dbef, v27
	v_fma_f32 v41, 0x3df6dbef, v45, -v18
	v_fmac_f32_e32 v18, 0x3df6dbef, v45
	v_fma_f32 v27, 0x3df6dbef, v2, -v27
	v_add_f32_e32 v26, v46, v30
	v_add_f32_e32 v28, v28, v31
	v_mul_f32_e32 v31, 0xbf52af12, v1
	v_add_f32_e32 v30, v41, v33
	v_mul_f32_e32 v33, 0xbf52af12, v38
	v_add_f32_e32 v18, v18, v19
	v_add_f32_e32 v19, v27, v24
	v_mul_f32_e32 v24, 0x3e750f2a, v38
	v_fmamk_f32 v27, v2, 0x3f116cb1, v31
	v_add_f32_e32 v34, v43, v34
	v_fma_f32 v41, 0x3f116cb1, v45, -v33
	v_fmac_f32_e32 v33, 0x3f116cb1, v45
	v_fma_f32 v31, 0x3f116cb1, v2, -v31
	v_fma_f32 v43, 0xbf788fa5, v45, -v24
	v_add_f32_e32 v20, v27, v20
	v_mul_f32_e32 v27, 0x3e750f2a, v1
	v_add_f32_e32 v32, v33, v32
	v_add_f32_e32 v21, v31, v21
	;; [unrolled: 1-line block ×3, first 2 shown]
	v_mul_f32_e32 v31, 0x3eedf032, v38
	v_fmamk_f32 v33, v2, 0xbf788fa5, v27
	v_fmac_f32_e32 v24, 0xbf788fa5, v45
	v_mul_f32_e32 v43, 0x3eedf032, v1
	v_fma_f32 v27, 0xbf788fa5, v2, -v27
	v_add_f32_e32 v41, v41, v44
	v_fma_f32 v44, 0x3f62ad3f, v45, -v31
	v_add_f32_e32 v24, v24, v29
	v_fmamk_f32 v29, v2, 0x3f62ad3f, v43
	v_add_f32_e32 v27, v27, v35
	v_mul_f32_e32 v35, 0xbf6f5d39, v38
	v_fmac_f32_e32 v31, 0x3f62ad3f, v45
	v_mul_f32_e32 v1, 0xbf6f5d39, v1
	v_add_f32_e32 v23, v33, v23
	v_add_f32_e32 v33, v44, v39
	;; [unrolled: 1-line block ×3, first 2 shown]
	v_fma_f32 v37, 0x3f62ad3f, v2, -v43
	v_fma_f32 v38, 0xbeb58ec6, v45, -v35
	v_add_f32_e32 v31, v31, v36
	v_sub_f32_e32 v36, v4, v6
	v_fmamk_f32 v39, v2, 0xbeb58ec6, v1
	v_add_f32_e32 v37, v37, v40
	v_add_f32_e32 v38, v38, v42
	v_add_f32_e32 v40, v5, v3
	v_mul_f32_e32 v42, 0xbe750f2a, v36
	v_add_f32_e32 v34, v39, v34
	v_sub_f32_e32 v39, v3, v5
	v_fma_f32 v1, 0xbeb58ec6, v2, -v1
	v_add_f32_e32 v43, v6, v4
	v_fma_f32 v2, 0xbf788fa5, v40, -v42
	v_fmac_f32_e32 v35, 0xbeb58ec6, v45
	v_mul_f32_e32 v3, 0xbe750f2a, v39
	v_add_f32_e32 v44, v1, v7
	v_mul_f32_e32 v6, 0x3eedf032, v39
	v_add_f32_e32 v1, v2, v16
	v_mul_f32_e32 v7, 0x3eedf032, v36
	v_fmamk_f32 v2, v43, 0xbf788fa5, v3
	v_fma_f32 v4, 0xbf788fa5, v43, -v3
	v_fmac_f32_e32 v42, 0xbf788fa5, v40
	v_add_f32_e32 v35, v35, v17
	v_fma_f32 v5, 0x3f62ad3f, v40, -v7
	v_add_f32_e32 v2, v2, v25
	v_add_f32_e32 v4, v4, v8
	v_fmamk_f32 v8, v43, 0x3f62ad3f, v6
	v_mul_f32_e32 v25, 0xbf29c268, v36
	v_add_f32_e32 v3, v42, v26
	v_fmac_f32_e32 v7, 0x3f62ad3f, v40
	v_fma_f32 v16, 0x3f62ad3f, v43, -v6
	v_add_f32_e32 v6, v8, v28
	v_mul_f32_e32 v17, 0xbf29c268, v39
	v_fma_f32 v26, 0xbf3f9e67, v40, -v25
	v_mul_f32_e32 v28, 0x3f52af12, v36
	v_add_f32_e32 v7, v7, v18
	v_add_f32_e32 v8, v16, v19
	v_fmamk_f32 v18, v43, 0xbf3f9e67, v17
	v_add_f32_e32 v16, v26, v41
	v_fma_f32 v26, 0x3f116cb1, v40, -v28
	v_add_f32_e32 v5, v5, v30
	v_fmac_f32_e32 v25, 0xbf3f9e67, v40
	v_fma_f32 v19, 0xbf3f9e67, v43, -v17
	v_add_f32_e32 v17, v18, v20
	v_mul_f32_e32 v30, 0x3f52af12, v39
	v_add_f32_e32 v20, v26, v22
	v_mul_f32_e32 v26, 0xbf6f5d39, v36
	v_add_f32_e32 v18, v25, v32
	v_add_f32_e32 v19, v19, v21
	v_fmamk_f32 v21, v43, 0x3f116cb1, v30
	v_fmac_f32_e32 v28, 0x3f116cb1, v40
	v_fma_f32 v25, 0x3f116cb1, v43, -v30
	v_mul_f32_e32 v30, 0xbf6f5d39, v39
	v_fma_f32 v32, 0xbeb58ec6, v40, -v26
	v_add_f32_e32 v21, v21, v23
	v_add_f32_e32 v22, v28, v24
	;; [unrolled: 1-line block ×3, first 2 shown]
	v_fmamk_f32 v25, v43, 0xbeb58ec6, v30
	v_add_f32_e32 v24, v32, v33
	v_fmac_f32_e32 v26, 0xbeb58ec6, v40
	v_mul_f32_e32 v32, 0x3f7e222b, v36
	v_mul_f32_e32 v28, 0x3f7e222b, v39
	ds_write2_b64 v15, v[10:11], v[1:2] offset1:1
	ds_write2_b64 v15, v[5:6], v[16:17] offset0:2 offset1:3
	v_mul_u32_u24_e32 v1, 12, v14
	v_add_f32_e32 v25, v25, v29
	v_fma_f32 v27, 0xbeb58ec6, v43, -v30
	v_add_f32_e32 v26, v26, v31
	v_fma_f32 v29, 0x3df6dbef, v40, -v32
	v_fmamk_f32 v30, v43, 0x3df6dbef, v28
	v_fmac_f32_e32 v32, 0x3df6dbef, v40
	v_fma_f32 v31, 0x3df6dbef, v43, -v28
	v_lshlrev_b32_e32 v5, 3, v1
	v_add_f32_e32 v28, v29, v38
	v_add_f32_e32 v29, v30, v34
	;; [unrolled: 1-line block ×5, first 2 shown]
	ds_write2_b64 v15, v[20:21], v[24:25] offset0:4 offset1:5
	ds_write2_b64 v15, v[28:29], v[30:31] offset0:6 offset1:7
	;; [unrolled: 1-line block ×4, first 2 shown]
	ds_write_b64 v15, v[3:4] offset:96
	s_waitcnt lgkmcnt(0)
	s_barrier
	buffer_gl0_inv
	s_clause 0x5
	global_load_dwordx4 v[1:4], v5, s[8:9]
	global_load_dwordx4 v[14:17], v5, s[8:9] offset:16
	global_load_dwordx4 v[18:21], v5, s[8:9] offset:32
	;; [unrolled: 1-line block ×5, first 2 shown]
	ds_read2_b64 v[5:8], v12 offset0:13 offset1:26
	ds_read_b64 v[10:11], v12 offset:312
	ds_read2_b32 v[50:51], v12 offset0:104 offset1:105
	ds_read_b64 v[52:53], v13
	ds_read2_b64 v[34:37], v12 offset0:65 offset1:78
	ds_read2_b64 v[38:41], v12 offset0:91 offset1:104
	;; [unrolled: 1-line block ×4, first 2 shown]
	s_waitcnt vmcnt(0) lgkmcnt(0)
	s_barrier
	buffer_gl0_inv
	v_mul_f32_e32 v13, v2, v6
	v_mul_f32_e32 v2, v2, v5
	;; [unrolled: 1-line block ×5, first 2 shown]
	v_fma_f32 v13, v1, v5, -v13
	v_fmac_f32_e32 v2, v1, v6
	v_mul_f32_e32 v15, v15, v10
	v_mul_f32_e32 v1, v51, v17
	v_fma_f32 v54, v3, v7, -v54
	v_fmac_f32_e32 v55, v3, v8
	v_mul_f32_e32 v17, v17, v50
	v_fmac_f32_e32 v15, v14, v11
	v_fma_f32 v11, v16, v50, -v1
	v_mul_f32_e32 v1, v37, v21
	v_add_f32_e32 v5, v13, v52
	v_add_f32_e32 v6, v2, v53
	v_fma_f32 v10, v14, v10, -v4
	v_fmac_f32_e32 v17, v51, v16
	v_fma_f32 v4, v36, v20, -v1
	v_mul_f32_e32 v1, v39, v23
	v_add_f32_e32 v14, v5, v54
	v_add_f32_e32 v16, v6, v55
	v_mul_f32_e32 v3, v35, v19
	v_mul_f32_e32 v7, v34, v19
	v_fma_f32 v6, v38, v22, -v1
	v_mul_f32_e32 v1, v41, v25
	v_add_f32_e32 v14, v14, v10
	v_add_f32_e32 v16, v16, v15
	v_fma_f32 v8, v34, v18, -v3
	v_fmac_f32_e32 v7, v35, v18
	v_mul_f32_e32 v3, v36, v21
	v_fma_f32 v19, v40, v24, -v1
	v_add_f32_e32 v1, v14, v11
	v_add_f32_e32 v14, v16, v17
	v_mul_f32_e32 v5, v38, v23
	v_fmac_f32_e32 v3, v37, v20
	v_mul_f32_e32 v18, v40, v25
	v_add_f32_e32 v1, v1, v8
	v_add_f32_e32 v14, v14, v7
	v_fmac_f32_e32 v5, v39, v22
	v_mul_f32_e32 v16, v43, v27
	v_fmac_f32_e32 v18, v41, v24
	v_add_f32_e32 v1, v1, v4
	v_add_f32_e32 v14, v14, v3
	v_mul_f32_e32 v20, v42, v27
	v_mul_f32_e32 v24, v48, v33
	v_fma_f32 v16, v42, v26, -v16
	v_add_f32_e32 v1, v1, v6
	v_add_f32_e32 v14, v14, v5
	v_mul_f32_e32 v21, v45, v29
	v_fmac_f32_e32 v20, v43, v26
	v_mul_f32_e32 v22, v44, v29
	v_add_f32_e32 v1, v1, v19
	v_add_f32_e32 v14, v14, v18
	v_mul_f32_e32 v25, v49, v33
	v_fmac_f32_e32 v24, v49, v32
	v_fma_f32 v21, v44, v28, -v21
	v_mul_f32_e32 v23, v47, v31
	v_fmac_f32_e32 v22, v45, v28
	v_mul_f32_e32 v26, v46, v31
	v_add_f32_e32 v1, v1, v16
	v_add_f32_e32 v14, v14, v20
	v_fma_f32 v25, v48, v32, -v25
	v_sub_f32_e32 v27, v2, v24
	v_fma_f32 v23, v46, v30, -v23
	v_fmac_f32_e32 v26, v47, v30
	v_add_f32_e32 v1, v1, v21
	v_add_f32_e32 v14, v14, v22
	;; [unrolled: 1-line block ×3, first 2 shown]
	v_mul_f32_e32 v29, 0xbeedf032, v27
	v_sub_f32_e32 v13, v13, v25
	v_add_f32_e32 v1, v1, v23
	v_add_f32_e32 v14, v14, v26
	v_add_f32_e32 v30, v2, v24
	v_fma_f32 v31, 0x3f62ad3f, v28, -v29
	v_mul_f32_e32 v32, 0xbeedf032, v13
	v_sub_f32_e32 v48, v55, v26
	v_add_f32_e32 v1, v1, v25
	v_add_f32_e32 v2, v14, v24
	;; [unrolled: 1-line block ×3, first 2 shown]
	v_fmamk_f32 v24, v30, 0x3f62ad3f, v32
	v_mul_f32_e32 v25, 0xbf52af12, v27
	v_fma_f32 v31, 0x3f62ad3f, v30, -v32
	v_mul_f32_e32 v32, 0xbf52af12, v13
	v_mul_f32_e32 v35, 0xbf7e222b, v27
	;; [unrolled: 1-line block ×9, first 2 shown]
	v_add_f32_e32 v50, v54, v23
	v_mul_f32_e32 v51, 0xbf52af12, v48
	v_sub_f32_e32 v23, v54, v23
	v_fmac_f32_e32 v29, 0x3f62ad3f, v28
	v_fma_f32 v33, 0x3f116cb1, v28, -v25
	v_fmamk_f32 v34, v30, 0x3f116cb1, v32
	v_fmac_f32_e32 v25, 0x3f116cb1, v28
	v_fma_f32 v32, 0x3f116cb1, v30, -v32
	v_fma_f32 v36, 0x3df6dbef, v28, -v35
	v_fmamk_f32 v39, v30, 0x3df6dbef, v37
	v_fmac_f32_e32 v35, 0x3df6dbef, v28
	v_fma_f32 v37, 0x3df6dbef, v30, -v37
	;; [unrolled: 4-line block ×5, first 2 shown]
	v_add_f32_e32 v26, v55, v26
	v_fma_f32 v28, 0x3f116cb1, v50, -v51
	v_mul_f32_e32 v30, 0xbf52af12, v23
	v_add_f32_e32 v24, v24, v53
	v_add_f32_e32 v29, v29, v52
	;; [unrolled: 1-line block ×13, first 2 shown]
	v_fmamk_f32 v28, v26, 0x3f116cb1, v30
	v_mul_f32_e32 v52, 0xbf6f5d39, v48
	v_add_f32_e32 v31, v31, v53
	v_add_f32_e32 v34, v34, v53
	;; [unrolled: 1-line block ×11, first 2 shown]
	v_fmac_f32_e32 v51, 0x3f116cb1, v50
	v_fma_f32 v30, 0x3f116cb1, v26, -v30
	v_mul_f32_e32 v53, 0xbf6f5d39, v23
	v_add_f32_e32 v24, v28, v24
	v_fma_f32 v28, 0xbeb58ec6, v50, -v52
	v_add_f32_e32 v29, v51, v29
	v_add_f32_e32 v30, v30, v31
	v_fmamk_f32 v31, v26, 0xbeb58ec6, v53
	v_mul_f32_e32 v51, 0xbe750f2a, v48
	v_add_f32_e32 v28, v28, v33
	v_fma_f32 v33, 0xbeb58ec6, v26, -v53
	v_fmac_f32_e32 v52, 0xbeb58ec6, v50
	v_add_f32_e32 v31, v31, v34
	v_fma_f32 v34, 0xbf788fa5, v50, -v51
	v_mul_f32_e32 v53, 0xbe750f2a, v23
	v_add_f32_e32 v32, v33, v32
	v_mul_f32_e32 v33, 0x3f29c268, v48
	v_add_f32_e32 v25, v52, v25
	v_add_f32_e32 v34, v34, v36
	v_fmamk_f32 v36, v26, 0xbf788fa5, v53
	v_fmac_f32_e32 v51, 0xbf788fa5, v50
	v_fma_f32 v52, 0xbf788fa5, v26, -v53
	v_fma_f32 v53, 0xbf3f9e67, v50, -v33
	v_mul_f32_e32 v54, 0x3f29c268, v23
	v_add_f32_e32 v36, v36, v39
	v_add_f32_e32 v35, v51, v35
	;; [unrolled: 1-line block ×4, first 2 shown]
	v_fmamk_f32 v40, v26, 0xbf3f9e67, v54
	v_mul_f32_e32 v51, 0x3f7e222b, v48
	v_fmac_f32_e32 v33, 0xbf3f9e67, v50
	v_mul_f32_e32 v52, 0x3f7e222b, v23
	v_mul_f32_e32 v48, 0x3eedf032, v48
	v_add_f32_e32 v40, v40, v42
	v_fma_f32 v42, 0x3df6dbef, v50, -v51
	v_add_f32_e32 v33, v33, v38
	v_fmamk_f32 v38, v26, 0x3df6dbef, v52
	v_fmac_f32_e32 v51, 0x3df6dbef, v50
	v_mul_f32_e32 v23, 0x3eedf032, v23
	v_add_f32_e32 v42, v42, v45
	v_fma_f32 v45, 0x3df6dbef, v26, -v52
	v_add_f32_e32 v38, v38, v46
	v_fma_f32 v46, 0x3f62ad3f, v50, -v48
	v_add_f32_e32 v43, v51, v43
	v_sub_f32_e32 v51, v15, v22
	v_add_f32_e32 v44, v45, v44
	v_add_f32_e32 v15, v15, v22
	;; [unrolled: 1-line block ×4, first 2 shown]
	v_mul_f32_e32 v52, 0xbf7e222b, v51
	v_sub_f32_e32 v10, v10, v21
	v_fmamk_f32 v46, v26, 0x3f62ad3f, v23
	v_fma_f32 v21, 0x3f62ad3f, v26, -v23
	v_fma_f32 v53, 0xbf3f9e67, v26, -v54
	;; [unrolled: 1-line block ×3, first 2 shown]
	v_mul_f32_e32 v23, 0xbf7e222b, v10
	v_fmac_f32_e32 v48, 0x3f62ad3f, v50
	v_add_f32_e32 v13, v21, v13
	v_add_f32_e32 v26, v46, v49
	;; [unrolled: 1-line block ×3, first 2 shown]
	v_fmamk_f32 v21, v15, 0x3df6dbef, v23
	v_mul_f32_e32 v22, 0xbe750f2a, v51
	v_fma_f32 v23, 0x3df6dbef, v15, -v23
	v_mul_f32_e32 v46, 0xbe750f2a, v10
	v_add_f32_e32 v27, v48, v27
	v_add_f32_e32 v21, v21, v24
	v_fma_f32 v24, 0xbf788fa5, v47, -v22
	v_add_f32_e32 v23, v23, v30
	v_fmamk_f32 v30, v15, 0xbf788fa5, v46
	v_mul_f32_e32 v48, 0x3f6f5d39, v51
	v_fmac_f32_e32 v22, 0xbf788fa5, v47
	v_add_f32_e32 v24, v24, v28
	v_fma_f32 v28, 0xbf788fa5, v15, -v46
	v_add_f32_e32 v30, v30, v31
	v_fma_f32 v31, 0xbeb58ec6, v47, -v48
	v_mul_f32_e32 v46, 0x3f6f5d39, v10
	v_add_f32_e32 v22, v22, v25
	v_add_f32_e32 v25, v28, v32
	v_mul_f32_e32 v28, 0x3eedf032, v51
	v_add_f32_e32 v31, v31, v34
	v_fmamk_f32 v32, v15, 0xbeb58ec6, v46
	v_fmac_f32_e32 v48, 0xbeb58ec6, v47
	v_fma_f32 v34, 0xbeb58ec6, v15, -v46
	v_fma_f32 v46, 0x3f62ad3f, v47, -v28
	v_mul_f32_e32 v49, 0x3eedf032, v10
	v_add_f32_e32 v41, v53, v41
	v_add_f32_e32 v32, v32, v36
	;; [unrolled: 1-line block ×5, first 2 shown]
	v_fmamk_f32 v37, v15, 0x3f62ad3f, v49
	v_mul_f32_e32 v39, 0xbf52af12, v51
	v_fma_f32 v48, 0x3f62ad3f, v15, -v49
	v_fmac_f32_e32 v28, 0x3f62ad3f, v47
	v_mul_f32_e32 v46, 0xbf52af12, v10
	v_add_f32_e32 v37, v37, v40
	v_fma_f32 v40, 0x3f116cb1, v47, -v39
	v_add_f32_e32 v41, v48, v41
	v_mul_f32_e32 v48, 0xbf29c268, v51
	v_fmac_f32_e32 v39, 0x3f116cb1, v47
	v_add_f32_e32 v28, v28, v33
	v_fmamk_f32 v33, v15, 0x3f116cb1, v46
	v_add_f32_e32 v40, v40, v42
	v_fma_f32 v42, 0xbf3f9e67, v47, -v48
	v_add_f32_e32 v39, v39, v43
	v_sub_f32_e32 v43, v17, v20
	v_add_f32_e32 v33, v33, v38
	v_fma_f32 v38, 0x3f116cb1, v15, -v46
	v_mul_f32_e32 v10, 0xbf29c268, v10
	v_add_f32_e32 v42, v42, v45
	v_add_f32_e32 v45, v11, v16
	v_mul_f32_e32 v46, 0xbf6f5d39, v43
	v_sub_f32_e32 v11, v11, v16
	v_add_f32_e32 v38, v38, v44
	v_fmamk_f32 v44, v15, 0xbf3f9e67, v10
	v_fma_f32 v10, 0xbf3f9e67, v15, -v10
	v_add_f32_e32 v15, v17, v20
	v_fma_f32 v16, 0xbeb58ec6, v45, -v46
	v_mul_f32_e32 v17, 0xbf6f5d39, v11
	v_fmac_f32_e32 v48, 0xbf3f9e67, v47
	v_add_f32_e32 v10, v10, v13
	v_add_f32_e32 v20, v44, v26
	;; [unrolled: 1-line block ×3, first 2 shown]
	v_fmamk_f32 v14, v15, 0xbeb58ec6, v17
	v_mul_f32_e32 v16, 0x3f29c268, v43
	v_add_f32_e32 v26, v48, v27
	v_fma_f32 v17, 0xbeb58ec6, v15, -v17
	v_mul_f32_e32 v27, 0x3f29c268, v11
	v_add_f32_e32 v14, v14, v21
	v_fma_f32 v21, 0xbf3f9e67, v45, -v16
	v_fmac_f32_e32 v52, 0x3df6dbef, v47
	v_add_f32_e32 v17, v17, v23
	v_fmamk_f32 v23, v15, 0xbf3f9e67, v27
	v_mul_f32_e32 v44, 0x3eedf032, v43
	v_add_f32_e32 v21, v21, v24
	v_fmac_f32_e32 v16, 0xbf3f9e67, v45
	v_fma_f32 v24, 0xbf3f9e67, v15, -v27
	v_add_f32_e32 v29, v52, v29
	v_fmac_f32_e32 v46, 0xbeb58ec6, v45
	v_add_f32_e32 v23, v23, v30
	v_fma_f32 v27, 0x3f62ad3f, v45, -v44
	v_mul_f32_e32 v30, 0x3eedf032, v11
	v_add_f32_e32 v16, v16, v22
	v_add_f32_e32 v22, v24, v25
	v_mul_f32_e32 v24, 0xbf7e222b, v43
	v_add_f32_e32 v29, v46, v29
	v_add_f32_e32 v25, v27, v31
	v_fmamk_f32 v27, v15, 0x3f62ad3f, v30
	v_fmac_f32_e32 v44, 0x3f62ad3f, v45
	v_fma_f32 v30, 0x3f62ad3f, v15, -v30
	v_fma_f32 v31, 0x3df6dbef, v45, -v24
	v_mul_f32_e32 v46, 0xbf7e222b, v11
	v_add_f32_e32 v27, v27, v32
	v_add_f32_e32 v32, v44, v35
	;; [unrolled: 1-line block ×4, first 2 shown]
	v_fmamk_f32 v34, v15, 0x3df6dbef, v46
	v_mul_f32_e32 v35, 0x3e750f2a, v43
	v_fmac_f32_e32 v24, 0x3df6dbef, v45
	v_mul_f32_e32 v36, 0x3e750f2a, v11
	v_mul_f32_e32 v43, 0x3f52af12, v43
	v_add_f32_e32 v34, v34, v37
	v_fma_f32 v37, 0xbf788fa5, v45, -v35
	v_add_f32_e32 v24, v24, v28
	v_fmamk_f32 v28, v15, 0xbf788fa5, v36
	v_fmac_f32_e32 v35, 0xbf788fa5, v45
	v_mul_f32_e32 v11, 0x3f52af12, v11
	v_add_f32_e32 v37, v37, v40
	v_add_f32_e32 v40, v8, v19
	;; [unrolled: 1-line block ×3, first 2 shown]
	v_fma_f32 v33, 0xbf788fa5, v15, -v36
	v_fma_f32 v36, 0x3f116cb1, v45, -v43
	v_add_f32_e32 v35, v35, v39
	v_sub_f32_e32 v39, v7, v18
	v_sub_f32_e32 v8, v8, v19
	v_fma_f32 v44, 0x3df6dbef, v15, -v46
	v_add_f32_e32 v36, v36, v42
	v_add_f32_e32 v33, v33, v38
	v_mul_f32_e32 v42, 0xbf29c268, v39
	v_fmamk_f32 v38, v15, 0x3f116cb1, v11
	v_fma_f32 v11, 0x3f116cb1, v15, -v11
	v_add_f32_e32 v7, v7, v18
	v_mul_f32_e32 v18, 0xbf29c268, v8
	v_fma_f32 v15, 0xbf3f9e67, v40, -v42
	v_fmac_f32_e32 v43, 0x3f116cb1, v45
	v_add_f32_e32 v10, v11, v10
	v_add_f32_e32 v19, v38, v20
	v_mul_f32_e32 v38, 0xbf52af12, v39
	v_add_f32_e32 v11, v15, v13
	v_fmamk_f32 v13, v7, 0xbf3f9e67, v18
	v_mul_f32_e32 v15, 0x3f7e222b, v39
	v_add_f32_e32 v20, v43, v26
	v_fma_f32 v18, 0xbf3f9e67, v7, -v18
	v_mul_f32_e32 v26, 0x3f7e222b, v8
	v_add_f32_e32 v13, v13, v14
	v_fma_f32 v14, 0x3df6dbef, v40, -v15
	v_fmac_f32_e32 v15, 0x3df6dbef, v40
	v_add_f32_e32 v17, v18, v17
	v_fmamk_f32 v18, v7, 0x3df6dbef, v26
	v_fmac_f32_e32 v42, 0xbf3f9e67, v40
	v_add_f32_e32 v14, v14, v21
	v_fma_f32 v21, 0x3df6dbef, v7, -v26
	v_mul_f32_e32 v26, 0xbf52af12, v8
	v_add_f32_e32 v18, v18, v23
	v_fma_f32 v23, 0x3f116cb1, v40, -v38
	v_add_f32_e32 v15, v15, v16
	v_add_f32_e32 v16, v21, v22
	v_mul_f32_e32 v21, 0x3e750f2a, v39
	v_add_f32_e32 v29, v42, v29
	v_add_f32_e32 v22, v23, v25
	v_fmamk_f32 v23, v7, 0x3f116cb1, v26
	v_fma_f32 v25, 0x3f116cb1, v7, -v26
	v_fma_f32 v26, 0xbf788fa5, v40, -v21
	v_mul_f32_e32 v42, 0x3e750f2a, v8
	v_fmac_f32_e32 v38, 0x3f116cb1, v40
	v_add_f32_e32 v41, v44, v41
	v_add_f32_e32 v25, v25, v30
	v_add_f32_e32 v26, v26, v31
	v_fmamk_f32 v30, v7, 0xbf788fa5, v42
	v_mul_f32_e32 v31, 0x3eedf032, v39
	v_add_f32_e32 v23, v23, v27
	v_add_f32_e32 v27, v38, v32
	v_fmac_f32_e32 v21, 0xbf788fa5, v40
	v_fma_f32 v32, 0xbf788fa5, v7, -v42
	v_mul_f32_e32 v38, 0x3eedf032, v8
	v_add_f32_e32 v30, v30, v34
	v_fma_f32 v34, 0x3f62ad3f, v40, -v31
	v_fmac_f32_e32 v31, 0x3f62ad3f, v40
	v_add_f32_e32 v21, v21, v24
	v_add_f32_e32 v24, v32, v41
	v_fmamk_f32 v32, v7, 0x3f62ad3f, v38
	v_mul_f32_e32 v39, 0xbf6f5d39, v39
	v_add_f32_e32 v34, v34, v37
	v_fma_f32 v37, 0x3f62ad3f, v7, -v38
	v_mul_f32_e32 v8, 0xbf6f5d39, v8
	v_add_f32_e32 v31, v31, v35
	v_sub_f32_e32 v35, v3, v5
	v_sub_f32_e32 v38, v4, v6
	v_add_f32_e32 v28, v32, v28
	v_fma_f32 v32, 0xbeb58ec6, v40, -v39
	v_add_f32_e32 v33, v37, v33
	v_add_f32_e32 v37, v4, v6
	v_mul_f32_e32 v6, 0xbe750f2a, v35
	v_fmac_f32_e32 v39, 0xbeb58ec6, v40
	v_fma_f32 v4, 0xbeb58ec6, v7, -v8
	v_add_f32_e32 v40, v3, v5
	v_mul_f32_e32 v5, 0xbe750f2a, v38
	v_add_f32_e32 v32, v32, v36
	v_fmamk_f32 v36, v7, 0xbeb58ec6, v8
	v_fma_f32 v3, 0xbf788fa5, v37, -v6
	v_add_f32_e32 v41, v4, v10
	v_fmamk_f32 v4, v40, 0xbf788fa5, v5
	v_mul_f32_e32 v10, 0x3eedf032, v35
	v_fmac_f32_e32 v6, 0xbf788fa5, v37
	v_fma_f32 v7, 0xbf788fa5, v40, -v5
	v_mul_f32_e32 v8, 0x3eedf032, v38
	v_add_f32_e32 v3, v3, v11
	v_add_f32_e32 v4, v4, v13
	v_fma_f32 v11, 0x3f62ad3f, v37, -v10
	v_add_f32_e32 v5, v6, v29
	v_add_f32_e32 v6, v7, v17
	v_mul_f32_e32 v17, 0xbf29c268, v35
	v_fmamk_f32 v13, v40, 0x3f62ad3f, v8
	v_add_f32_e32 v7, v11, v14
	v_fma_f32 v11, 0x3f62ad3f, v40, -v8
	v_add_f32_e32 v36, v36, v19
	v_fma_f32 v14, 0xbf3f9e67, v37, -v17
	v_add_f32_e32 v8, v13, v18
	v_mul_f32_e32 v18, 0xbf29c268, v38
	v_add_f32_e32 v39, v39, v20
	v_mul_f32_e32 v19, 0x3f52af12, v35
	;; [unrolled: 2-line block ×3, first 2 shown]
	v_fmamk_f32 v14, v40, 0xbf3f9e67, v18
	v_fmac_f32_e32 v10, 0x3f62ad3f, v37
	v_add_f32_e32 v11, v11, v16
	v_fmac_f32_e32 v17, 0xbf3f9e67, v37
	v_fma_f32 v16, 0xbf3f9e67, v40, -v18
	v_fma_f32 v18, 0x3f116cb1, v37, -v19
	v_add_f32_e32 v14, v14, v23
	v_fmamk_f32 v22, v40, 0x3f116cb1, v20
	v_mul_f32_e32 v23, 0xbf6f5d39, v35
	v_add_f32_e32 v10, v10, v15
	v_add_f32_e32 v15, v17, v27
	;; [unrolled: 1-line block ×5, first 2 shown]
	v_mul_f32_e32 v25, 0xbf6f5d39, v38
	v_fmac_f32_e32 v19, 0x3f116cb1, v37
	v_fma_f32 v22, 0xbeb58ec6, v37, -v23
	v_mul_u32_u24_e32 v26, 0x1556, v0
	v_fma_f32 v20, 0x3f116cb1, v40, -v20
	v_fmamk_f32 v27, v40, 0xbeb58ec6, v25
	v_add_f32_e32 v19, v19, v21
	v_add_f32_e32 v21, v22, v34
	v_lshrrev_b32_e32 v34, 16, v26
	v_add_f32_e32 v20, v20, v24
	v_add_f32_e32 v22, v27, v28
	v_fmac_f32_e32 v23, 0xbeb58ec6, v37
	v_fma_f32 v24, 0xbeb58ec6, v40, -v25
	v_mul_f32_e32 v27, 0x3f7e222b, v35
	v_mul_lo_u16 v25, v34, 12
	v_mul_f32_e32 v26, 0x3f7e222b, v38
	v_add_f32_e32 v23, v23, v31
	v_add_f32_e32 v24, v24, v33
	v_fma_f32 v28, 0x3df6dbef, v37, -v27
	v_sub_nc_u16 v31, v0, v25
	v_fmamk_f32 v29, v40, 0x3df6dbef, v26
	v_fma_f32 v30, 0x3df6dbef, v40, -v26
	v_fmac_f32_e32 v27, 0x3df6dbef, v37
	v_add_f32_e32 v25, v28, v32
	v_and_b32_e32 v32, 0xffff, v31
	v_add_f32_e32 v26, v29, v36
	v_add_f32_e32 v28, v30, v41
	;; [unrolled: 1-line block ×3, first 2 shown]
	ds_write2_b64 v12, v[1:2], v[3:4] offset1:13
	ds_write2_b64 v12, v[7:8], v[13:14] offset0:26 offset1:39
	ds_write2_b64 v12, v[17:18], v[21:22] offset0:52 offset1:65
	ds_write2_b64 v12, v[25:26], v[27:28] offset0:78 offset1:91
	v_mad_u64_u32 v[29:30], null, s16, v32, 0
	v_mul_lo_u16 v3, 0xaa, v31
	v_mov_b32_e32 v4, 3
	v_mul_lo_u32 v8, s19, v34
	s_mul_i32 s19, s19, 13
	ds_write2_b64 v12, v[23:24], v[19:20] offset0:104 offset1:117
	ds_write2_b64 v12, v[15:16], v[10:11] offset0:130 offset1:143
	ds_write_b64 v12, v[5:6] offset:1248
	v_mov_b32_e32 v1, v30
	v_lshlrev_b32_sdwa v3, v4, v3 dst_sel:DWORD dst_unused:UNUSED_PAD src0_sel:DWORD src1_sel:WORD_0
	v_lshlrev_b32_e32 v4, 3, v34
	s_waitcnt lgkmcnt(0)
	s_barrier
	v_mad_u64_u32 v[1:2], null, s17, v32, v[1:2]
	buffer_gl0_inv
	v_lshlrev_b64 v[12:13], 3, v[8:9]
	v_add_nc_u32_e32 v8, s19, v8
	v_mov_b32_e32 v30, v1
	v_add3_u32 v1, 0, v3, v4
	v_add3_u32 v3, 0, v4, v3
	v_lshlrev_b64 v[14:15], 3, v[8:9]
	v_add_nc_u32_e32 v8, s19, v8
	ds_read_b64 v[10:11], v1
	v_lshlrev_b64 v[1:2], 3, v[29:30]
	ds_read2_b64 v[4:7], v3 offset0:13 offset1:26
	v_lshlrev_b64 v[16:17], 3, v[8:9]
	v_add_nc_u32_e32 v8, s19, v8
	v_add_co_u32 v1, vcc_lo, s0, v1
	v_add_co_ci_u32_e32 v2, vcc_lo, s1, v2, vcc_lo
	v_lshlrev_b64 v[18:19], 3, v[8:9]
	v_add_co_u32 v12, vcc_lo, v1, v12
	v_add_co_ci_u32_e32 v13, vcc_lo, v2, v13, vcc_lo
	v_add_co_u32 v14, vcc_lo, v1, v14
	v_add_co_ci_u32_e32 v15, vcc_lo, v2, v15, vcc_lo
	;; [unrolled: 2-line block ×3, first 2 shown]
	v_add_nc_u32_e32 v8, s19, v8
	s_waitcnt lgkmcnt(1)
	global_store_dwordx2 v[12:13], v[10:11], off
	s_waitcnt lgkmcnt(0)
	global_store_dwordx2 v[14:15], v[4:5], off
	global_store_dwordx2 v[16:17], v[6:7], off
	ds_read2_b64 v[4:7], v3 offset0:39 offset1:52
	ds_read2_b64 v[10:13], v3 offset0:65 offset1:78
	v_add_co_u32 v16, vcc_lo, v1, v18
	v_lshlrev_b64 v[14:15], 3, v[8:9]
	v_add_nc_u32_e32 v8, s19, v8
	v_add_co_ci_u32_e32 v17, vcc_lo, v2, v19, vcc_lo
	s_mov_b32 s0, exec_lo
	v_lshlrev_b64 v[18:19], 3, v[8:9]
	v_add_co_u32 v14, vcc_lo, v1, v14
	v_add_co_ci_u32_e32 v15, vcc_lo, v2, v15, vcc_lo
	v_add_nc_u32_e32 v8, s19, v8
	v_add_co_u32 v18, vcc_lo, v1, v18
	v_add_co_ci_u32_e32 v19, vcc_lo, v2, v19, vcc_lo
	v_lshlrev_b64 v[20:21], 3, v[8:9]
	v_add_nc_u32_e32 v8, s19, v8
	s_waitcnt lgkmcnt(1)
	global_store_dwordx2 v[16:17], v[4:5], off
	global_store_dwordx2 v[14:15], v[6:7], off
	s_waitcnt lgkmcnt(0)
	global_store_dwordx2 v[18:19], v[10:11], off
	ds_read2_b64 v[4:7], v3 offset0:91 offset1:104
	v_lshlrev_b64 v[10:11], 3, v[8:9]
	v_add_nc_u32_e32 v8, s19, v8
	v_add_co_u32 v14, vcc_lo, v1, v20
	v_add_co_ci_u32_e32 v15, vcc_lo, v2, v21, vcc_lo
	v_lshlrev_b64 v[16:17], 3, v[8:9]
	v_add_nc_u32_e32 v8, s19, v8
	v_add_co_u32 v10, vcc_lo, v1, v10
	v_add_co_ci_u32_e32 v11, vcc_lo, v2, v11, vcc_lo
	v_add_co_u32 v16, vcc_lo, v1, v16
	v_lshlrev_b64 v[18:19], 3, v[8:9]
	v_add_nc_u32_e32 v8, s19, v8
	v_add_co_ci_u32_e32 v17, vcc_lo, v2, v17, vcc_lo
	global_store_dwordx2 v[14:15], v[12:13], off
	s_waitcnt lgkmcnt(0)
	global_store_dwordx2 v[10:11], v[4:5], off
	global_store_dwordx2 v[16:17], v[6:7], off
	ds_read2_b64 v[4:7], v3 offset0:117 offset1:130
	v_lshlrev_b64 v[14:15], 3, v[8:9]
	v_add_nc_u32_e32 v8, s19, v8
	ds_read2_b64 v[10:13], v3 offset0:143 offset1:156
	v_add_co_u32 v16, vcc_lo, v1, v18
	v_add_co_ci_u32_e32 v17, vcc_lo, v2, v19, vcc_lo
	v_lshlrev_b64 v[18:19], 3, v[8:9]
	v_add_nc_u32_e32 v8, s19, v8
	v_add_co_u32 v14, vcc_lo, v1, v14
	v_add_co_ci_u32_e32 v15, vcc_lo, v2, v15, vcc_lo
	v_lshlrev_b64 v[20:21], 3, v[8:9]
	v_add_co_u32 v18, vcc_lo, v1, v18
	v_add_co_ci_u32_e32 v19, vcc_lo, v2, v19, vcc_lo
	v_add_co_u32 v20, vcc_lo, v1, v20
	v_add_co_ci_u32_e32 v21, vcc_lo, v2, v21, vcc_lo
	s_waitcnt lgkmcnt(1)
	global_store_dwordx2 v[16:17], v[4:5], off
	global_store_dwordx2 v[14:15], v[6:7], off
	s_waitcnt lgkmcnt(0)
	global_store_dwordx2 v[18:19], v[10:11], off
	global_store_dwordx2 v[20:21], v[12:13], off
	v_cmpx_gt_u32_e32 12, v0
	s_cbranch_execz .LBB0_2
; %bb.1:
	ds_read_b64 v[3:4], v3 offset:1352
	v_add_nc_u32_e32 v8, s19, v8
	v_lshlrev_b64 v[5:6], 3, v[8:9]
	v_add_co_u32 v0, vcc_lo, v1, v5
	v_add_co_ci_u32_e32 v1, vcc_lo, v2, v6, vcc_lo
	s_waitcnt lgkmcnt(0)
	global_store_dwordx2 v[0:1], v[3:4], off
.LBB0_2:
	s_endpgm
	.section	.rodata,"a",@progbits
	.p2align	6, 0x0
	.amdhsa_kernel fft_rtc_fwd_len169_factors_13_13_wgs_156_tpt_13_sp_op_CI_CI_sbrc_erc_z_xy_aligned_dirReg
		.amdhsa_group_segment_fixed_size 0
		.amdhsa_private_segment_fixed_size 0
		.amdhsa_kernarg_size 104
		.amdhsa_user_sgpr_count 6
		.amdhsa_user_sgpr_private_segment_buffer 1
		.amdhsa_user_sgpr_dispatch_ptr 0
		.amdhsa_user_sgpr_queue_ptr 0
		.amdhsa_user_sgpr_kernarg_segment_ptr 1
		.amdhsa_user_sgpr_dispatch_id 0
		.amdhsa_user_sgpr_flat_scratch_init 0
		.amdhsa_user_sgpr_private_segment_size 0
		.amdhsa_wavefront_size32 1
		.amdhsa_uses_dynamic_stack 0
		.amdhsa_system_sgpr_private_segment_wavefront_offset 0
		.amdhsa_system_sgpr_workgroup_id_x 1
		.amdhsa_system_sgpr_workgroup_id_y 0
		.amdhsa_system_sgpr_workgroup_id_z 0
		.amdhsa_system_sgpr_workgroup_info 0
		.amdhsa_system_vgpr_workitem_id 0
		.amdhsa_next_free_vgpr 60
		.amdhsa_next_free_sgpr 30
		.amdhsa_reserve_vcc 1
		.amdhsa_reserve_flat_scratch 0
		.amdhsa_float_round_mode_32 0
		.amdhsa_float_round_mode_16_64 0
		.amdhsa_float_denorm_mode_32 3
		.amdhsa_float_denorm_mode_16_64 3
		.amdhsa_dx10_clamp 1
		.amdhsa_ieee_mode 1
		.amdhsa_fp16_overflow 0
		.amdhsa_workgroup_processor_mode 1
		.amdhsa_memory_ordered 1
		.amdhsa_forward_progress 0
		.amdhsa_shared_vgpr_count 0
		.amdhsa_exception_fp_ieee_invalid_op 0
		.amdhsa_exception_fp_denorm_src 0
		.amdhsa_exception_fp_ieee_div_zero 0
		.amdhsa_exception_fp_ieee_overflow 0
		.amdhsa_exception_fp_ieee_underflow 0
		.amdhsa_exception_fp_ieee_inexact 0
		.amdhsa_exception_int_div_zero 0
	.end_amdhsa_kernel
	.text
.Lfunc_end0:
	.size	fft_rtc_fwd_len169_factors_13_13_wgs_156_tpt_13_sp_op_CI_CI_sbrc_erc_z_xy_aligned_dirReg, .Lfunc_end0-fft_rtc_fwd_len169_factors_13_13_wgs_156_tpt_13_sp_op_CI_CI_sbrc_erc_z_xy_aligned_dirReg
                                        ; -- End function
	.section	.AMDGPU.csdata,"",@progbits
; Kernel info:
; codeLenInByte = 9620
; NumSgprs: 32
; NumVgprs: 60
; ScratchSize: 0
; MemoryBound: 0
; FloatMode: 240
; IeeeMode: 1
; LDSByteSize: 0 bytes/workgroup (compile time only)
; SGPRBlocks: 3
; VGPRBlocks: 7
; NumSGPRsForWavesPerEU: 32
; NumVGPRsForWavesPerEU: 60
; Occupancy: 15
; WaveLimiterHint : 1
; COMPUTE_PGM_RSRC2:SCRATCH_EN: 0
; COMPUTE_PGM_RSRC2:USER_SGPR: 6
; COMPUTE_PGM_RSRC2:TRAP_HANDLER: 0
; COMPUTE_PGM_RSRC2:TGID_X_EN: 1
; COMPUTE_PGM_RSRC2:TGID_Y_EN: 0
; COMPUTE_PGM_RSRC2:TGID_Z_EN: 0
; COMPUTE_PGM_RSRC2:TIDIG_COMP_CNT: 0
	.text
	.p2alignl 6, 3214868480
	.fill 48, 4, 3214868480
	.type	__hip_cuid_2acd9059b1e3bff5,@object ; @__hip_cuid_2acd9059b1e3bff5
	.section	.bss,"aw",@nobits
	.globl	__hip_cuid_2acd9059b1e3bff5
__hip_cuid_2acd9059b1e3bff5:
	.byte	0                               ; 0x0
	.size	__hip_cuid_2acd9059b1e3bff5, 1

	.ident	"AMD clang version 19.0.0git (https://github.com/RadeonOpenCompute/llvm-project roc-6.4.0 25133 c7fe45cf4b819c5991fe208aaa96edf142730f1d)"
	.section	".note.GNU-stack","",@progbits
	.addrsig
	.addrsig_sym __hip_cuid_2acd9059b1e3bff5
	.amdgpu_metadata
---
amdhsa.kernels:
  - .args:
      - .actual_access:  read_only
        .address_space:  global
        .offset:         0
        .size:           8
        .value_kind:     global_buffer
      - .offset:         8
        .size:           8
        .value_kind:     by_value
      - .actual_access:  read_only
        .address_space:  global
        .offset:         16
        .size:           8
        .value_kind:     global_buffer
      - .actual_access:  read_only
        .address_space:  global
        .offset:         24
        .size:           8
        .value_kind:     global_buffer
      - .actual_access:  read_only
        .address_space:  global
        .offset:         32
        .size:           8
        .value_kind:     global_buffer
      - .offset:         40
        .size:           8
        .value_kind:     by_value
      - .actual_access:  read_only
        .address_space:  global
        .offset:         48
        .size:           8
        .value_kind:     global_buffer
      - .actual_access:  read_only
        .address_space:  global
        .offset:         56
        .size:           8
        .value_kind:     global_buffer
      - .offset:         64
        .size:           4
        .value_kind:     by_value
      - .actual_access:  read_only
        .address_space:  global
        .offset:         72
        .size:           8
        .value_kind:     global_buffer
      - .actual_access:  read_only
        .address_space:  global
        .offset:         80
        .size:           8
        .value_kind:     global_buffer
      - .actual_access:  read_only
        .address_space:  global
        .offset:         88
        .size:           8
        .value_kind:     global_buffer
      - .actual_access:  write_only
        .address_space:  global
        .offset:         96
        .size:           8
        .value_kind:     global_buffer
    .group_segment_fixed_size: 0
    .kernarg_segment_align: 8
    .kernarg_segment_size: 104
    .language:       OpenCL C
    .language_version:
      - 2
      - 0
    .max_flat_workgroup_size: 156
    .name:           fft_rtc_fwd_len169_factors_13_13_wgs_156_tpt_13_sp_op_CI_CI_sbrc_erc_z_xy_aligned_dirReg
    .private_segment_fixed_size: 0
    .sgpr_count:     32
    .sgpr_spill_count: 0
    .symbol:         fft_rtc_fwd_len169_factors_13_13_wgs_156_tpt_13_sp_op_CI_CI_sbrc_erc_z_xy_aligned_dirReg.kd
    .uniform_work_group_size: 1
    .uses_dynamic_stack: false
    .vgpr_count:     60
    .vgpr_spill_count: 0
    .wavefront_size: 32
    .workgroup_processor_mode: 1
amdhsa.target:   amdgcn-amd-amdhsa--gfx1030
amdhsa.version:
  - 1
  - 2
...

	.end_amdgpu_metadata
